;; amdgpu-corpus repo=ROCm/rocFFT kind=compiled arch=gfx1201 opt=O3
	.text
	.amdgcn_target "amdgcn-amd-amdhsa--gfx1201"
	.amdhsa_code_object_version 6
	.protected	bluestein_single_back_len10_dim1_half_op_CI_CI ; -- Begin function bluestein_single_back_len10_dim1_half_op_CI_CI
	.globl	bluestein_single_back_len10_dim1_half_op_CI_CI
	.p2align	8
	.type	bluestein_single_back_len10_dim1_half_op_CI_CI,@function
bluestein_single_back_len10_dim1_half_op_CI_CI: ; @bluestein_single_back_len10_dim1_half_op_CI_CI
; %bb.0:
	s_load_b128 s[12:15], s[0:1], 0x28
	v_lshl_or_b32 v13, ttmp9, 6, v0
	v_mov_b32_e32 v14, 0
	s_mov_b32 s2, exec_lo
	s_wait_kmcnt 0x0
	s_delay_alu instid0(VALU_DEP_1)
	v_cmpx_gt_u64_e64 s[12:13], v[13:14]
	s_cbranch_execz .LBB0_2
; %bb.1:
	s_clause 0x1
	s_load_b128 s[4:7], s[0:1], 0x18
	s_load_b64 s[2:3], s[0:1], 0x0
	v_mul_u32_u24_e32 v0, 10, v0
	s_load_b64 s[0:1], s[0:1], 0x38
	s_wait_kmcnt 0x0
	s_load_b128 s[8:11], s[4:5], 0x0
	s_clause 0x1
	global_load_b128 v[9:12], v14, s[2:3]
	global_load_b128 v[5:8], v14, s[2:3] offset:16
	s_wait_kmcnt 0x0
	v_mad_co_u64_u32 v[1:2], null, s10, v13, 0
	s_lshl_b64 s[4:5], s[8:9], 2
	s_lshl_b64 s[12:13], s[8:9], 4
	s_delay_alu instid0(VALU_DEP_1) | instskip(SKIP_1) | instid1(VALU_DEP_1)
	v_mad_co_u64_u32 v[2:3], null, s11, v13, v[2:3]
	s_lshl_b64 s[10:11], s[8:9], 3
	v_lshlrev_b64_e32 v[15:16], 2, v[1:2]
	global_load_b128 v[1:4], v14, s[2:3] offset:32
	v_add_co_u32 v15, vcc_lo, s14, v15
	v_add_co_ci_u32_e32 v16, vcc_lo, s15, v16, vcc_lo
	s_lshl_b64 s[14:15], s[8:9], 5
	s_delay_alu instid0(VALU_DEP_2) | instskip(SKIP_1) | instid1(VALU_DEP_2)
	v_add_co_u32 v17, vcc_lo, v15, s4
	s_wait_alu 0xfffd
	v_add_co_ci_u32_e32 v18, vcc_lo, s5, v16, vcc_lo
	s_wait_alu 0xfffe
	v_add_co_u32 v19, vcc_lo, v15, s10
	s_wait_alu 0xfffd
	v_add_co_ci_u32_e32 v20, vcc_lo, s11, v16, vcc_lo
	v_mad_co_u64_u32 v[21:22], null, s8, 12, v[15:16]
	v_mad_co_u64_u32 v[25:26], null, s8, 20, v[15:16]
	;; [unrolled: 1-line block ×3, first 2 shown]
	v_add_co_u32 v23, vcc_lo, v15, s12
	s_wait_alu 0xfffd
	v_add_co_ci_u32_e32 v24, vcc_lo, s13, v16, vcc_lo
	v_add_co_u32 v31, vcc_lo, v15, s14
	v_mad_co_u64_u32 v[29:30], null, s8, 28, v[15:16]
	s_wait_alu 0xfffd
	v_add_co_ci_u32_e32 v32, vcc_lo, s15, v16, vcc_lo
	s_clause 0x4
	global_load_b32 v33, v[15:16], off
	global_load_b32 v34, v[17:18], off
	global_load_b32 v35, v[19:20], off
	global_load_b32 v36, v[23:24], off
	global_load_b32 v37, v[31:32], off
	v_dual_mov_b32 v17, v22 :: v_dual_mov_b32 v18, v26
	v_dual_mov_b32 v19, v28 :: v_dual_mov_b32 v20, v30
	v_mad_co_u64_u32 v[15:16], null, s8, 36, v[15:16]
	s_delay_alu instid0(VALU_DEP_3) | instskip(NEXT) | instid1(VALU_DEP_3)
	v_mad_co_u64_u32 v[22:23], null, s9, 12, v[17:18]
	v_mad_co_u64_u32 v[17:18], null, s9, 20, v[18:19]
	s_delay_alu instid0(VALU_DEP_4) | instskip(SKIP_1) | instid1(VALU_DEP_3)
	v_mad_co_u64_u32 v[18:19], null, s9, 24, v[19:20]
	v_mad_co_u64_u32 v[19:20], null, s9, 28, v[20:21]
	;; [unrolled: 1-line block ×3, first 2 shown]
	v_mov_b32_e32 v26, v17
	global_load_b32 v17, v[21:22], off
	v_mov_b32_e32 v28, v18
	v_lshlrev_b32_e32 v24, 2, v0
	global_load_b32 v18, v[25:26], off
	v_mov_b32_e32 v16, v23
	s_wait_loadcnt 0x9
	v_lshrrev_b32_e32 v32, 16, v9
	s_wait_loadcnt 0x8
	v_lshrrev_b32_e32 v26, 16, v7
	v_mov_b32_e32 v30, v19
	v_lshrrev_b32_e32 v31, 16, v10
	v_lshrrev_b32_e32 v25, 16, v8
	v_and_b32_e32 v40, 0xffff, v32
	v_and_b32_e32 v43, 0xffff, v26
	;; [unrolled: 1-line block ×4, first 2 shown]
	s_delay_alu instid0(VALU_DEP_4) | instskip(NEXT) | instid1(VALU_DEP_4)
	v_lshl_or_b32 v40, v31, 16, v40
	v_lshl_or_b32 v43, v25, 16, v43
	s_delay_alu instid0(VALU_DEP_4) | instskip(NEXT) | instid1(VALU_DEP_4)
	v_lshl_or_b32 v22, v6, 16, v22
	v_lshl_or_b32 v38, v8, 16, v38
	s_wait_loadcnt 0x7
	v_and_b32_e32 v39, 0xffff, v1
	s_clause 0x2
	global_load_b32 v19, v[27:28], off
	global_load_b32 v20, v[29:30], off
	global_load_b32 v21, v[15:16], off
	v_lshrrev_b32_e32 v30, 16, v11
	v_and_b32_e32 v16, 0xffff, v11
	v_lshrrev_b32_e32 v28, 16, v12
	v_and_b32_e32 v15, 0xffff, v9
	v_lshrrev_b32_e32 v29, 16, v5
	v_lshrrev_b32_e32 v23, 16, v1
	v_lshl_or_b32 v41, v12, 16, v16
	v_and_b32_e32 v16, 0xffff, v30
	v_lshl_or_b32 v15, v10, 16, v15
	v_lshrrev_b32_e32 v27, 16, v6
	v_and_b32_e32 v42, 0xffff, v29
	v_lshrrev_b32_e32 v0, 16, v2
	v_lshl_or_b32 v45, v28, 16, v16
	v_and_b32_e32 v44, 0xffff, v23
	v_lshl_or_b32 v39, v2, 16, v39
	v_lshl_or_b32 v42, v27, 16, v42
	s_load_b128 s[12:15], s[6:7], 0x0
	s_delay_alu instid0(VALU_DEP_3)
	v_lshl_or_b32 v44, v0, 16, v44
	s_wait_loadcnt 0x8
	v_lshrrev_b32_e32 v46, 16, v34
	v_lshrrev_b32_e32 v16, 16, v33
	v_bfi_b32 v47, 0xffff, v33, v34
	v_alignbit_b32 v48, v34, v33, 16
	s_wait_loadcnt 0x6
	v_lshrrev_b32_e32 v50, 16, v36
	s_wait_loadcnt 0x5
	v_lshrrev_b32_e32 v51, 16, v37
	v_mul_f16_e32 v49, v32, v16
	v_mul_f16_e32 v16, v31, v34
	v_lshrrev_b32_e32 v34, 16, v35
	v_pk_mul_f16 v40, v40, v47
	v_mul_f16_e32 v47, v23, v51
	v_fmac_f16_e32 v49, v9, v33
	v_pk_mul_f16 v33, v15, v48
	v_mul_f16_e32 v34, v30, v34
	v_fma_f16 v16, v10, v46, -v16
	v_mul_f16_e32 v46, v29, v50
	v_pk_fma_f16 v15, v15, v48, v40
	v_sub_f16_e32 v33, v33, v40
	v_fmac_f16_e32 v34, v11, v35
	v_fmac_f16_e32 v47, v1, v37
	;; [unrolled: 1-line block ×3, first 2 shown]
	v_alignbit_b32 v16, v16, v15, 16
	s_wait_loadcnt 0x4
	v_bfi_b32 v40, 0xffff, v35, v17
	v_alignbit_b32 v35, v17, v35, 16
	v_pack_b32_f16 v15, v49, v33
	v_lshrrev_b32_e32 v33, 16, v17
	v_mul_f16_e32 v17, v28, v17
	s_wait_loadcnt 0x3
	v_lshrrev_b32_e32 v48, 16, v18
	v_bfi_b32 v49, 0xffff, v36, v18
	v_alignbit_b32 v36, v18, v36, 16
	v_mul_f16_e32 v18, v27, v18
	v_pk_mul_f16 v56, v41, v35
	v_pk_mul_f16 v40, v45, v40
	v_fma_f16 v17, v12, v33, -v17
	v_pk_mul_f16 v33, v22, v36
	v_pk_mul_f16 v42, v42, v49
	v_fma_f16 v45, v6, v48, -v18
	s_wait_kmcnt 0x0
	s_lshl_b64 s[4:5], s[12:13], 4
	s_delay_alu instid0(VALU_DEP_2)
	v_pk_fma_f16 v22, v22, v36, v42
	v_sub_f16_e32 v33, v33, v42
	s_wait_loadcnt 0x2
	v_lshrrev_b32_e32 v50, 16, v19
	s_wait_loadcnt 0x1
	v_bfi_b32 v52, 0xffff, v19, v20
	v_alignbit_b32 v53, v20, v19, 16
	v_lshrrev_b32_e32 v51, 16, v20
	v_mul_f16_e32 v20, v25, v20
	s_wait_loadcnt 0x0
	v_bfi_b32 v55, 0xffff, v37, v21
	v_alignbit_b32 v37, v21, v37, 16
	v_lshrrev_b32_e32 v54, 16, v21
	v_mul_f16_e32 v21, v0, v21
	v_mul_f16_e32 v48, v26, v50
	v_pk_mul_f16 v18, v38, v53
	v_pk_mul_f16 v43, v43, v52
	v_fma_f16 v49, v8, v51, -v20
	v_pk_mul_f16 v20, v39, v37
	v_pk_mul_f16 v44, v44, v55
	v_fma_f16 v50, v2, v54, -v21
	v_pk_fma_f16 v21, v41, v35, v40
	v_sub_f16_e32 v35, v56, v40
	v_fmac_f16_e32 v48, v7, v19
	v_pk_fma_f16 v19, v38, v53, v43
	v_sub_f16_e32 v36, v18, v43
	v_pk_fma_f16 v37, v39, v37, v44
	v_sub_f16_e32 v38, v20, v44
	v_alignbit_b32 v18, v17, v21, 16
	v_pack_b32_f16 v17, v34, v35
	v_alignbit_b32 v20, v45, v22, 16
	v_alignbit_b32 v22, v49, v19, 16
	v_pack_b32_f16 v21, v48, v36
	v_pack_b32_f16 v19, v46, v33
	v_alignbit_b32 v34, v50, v37, 16
	v_pack_b32_f16 v33, v47, v38
	ds_store_2addr_b64 v24, v[15:16], v[17:18] offset1:1
	ds_store_2addr_b64 v24, v[19:20], v[21:22] offset0:2 offset1:3
	ds_store_b64 v24, v[33:34] offset:32
	global_wb scope:SCOPE_SE
	s_wait_dscnt 0x0
	s_barrier_signal -1
	s_barrier_wait -1
	global_inv scope:SCOPE_SE
	ds_load_2addr_b64 v[15:18], v24 offset0:2 offset1:3
	ds_load_2addr_b64 v[19:22], v24 offset1:1
	ds_load_b64 v[33:34], v24 offset:32
	s_wait_dscnt 0x2
	v_add_f16_e32 v35, v15, v17
	s_wait_dscnt 0x1
	v_lshrrev_b32_e32 v36, 16, v21
	s_wait_dscnt 0x0
	v_lshrrev_b32_e32 v37, 16, v33
	v_lshrrev_b32_e32 v38, 16, v15
	;; [unrolled: 1-line block ×3, first 2 shown]
	v_sub_f16_e32 v40, v33, v17
	v_sub_f16_e32 v41, v21, v15
	v_add_f16_e32 v42, v21, v33
	v_sub_f16_e32 v43, v17, v33
	v_sub_f16_e32 v44, v15, v21
	v_pk_add_f16 v45, v19, v21
	v_add_f16_e32 v48, v16, v18
	v_lshrrev_b32_e32 v49, 16, v22
	v_lshrrev_b32_e32 v50, 16, v34
	;; [unrolled: 1-line block ×4, first 2 shown]
	v_add_f16_e32 v55, v22, v34
	v_pk_add_f16 v58, v20, v22
	v_lshrrev_b32_e32 v46, 16, v19
	v_sub_f16_e32 v47, v15, v17
	v_sub_f16_e32 v53, v34, v18
	;; [unrolled: 1-line block ×5, first 2 shown]
	v_lshrrev_b32_e32 v59, 16, v20
	v_sub_f16_e32 v60, v16, v18
	v_fma_f16 v35, -0.5, v35, v19
	v_sub_f16_e32 v61, v36, v37
	v_sub_f16_e32 v62, v38, v39
	v_add_f16_e32 v40, v41, v40
	v_fma_f16 v19, -0.5, v42, v19
	v_add_f16_e32 v41, v44, v43
	v_pk_add_f16 v15, v45, v15
	v_add_f16_e32 v42, v38, v39
	v_sub_f16_e32 v43, v36, v38
	v_sub_f16_e32 v44, v37, v39
	v_add_f16_e32 v45, v36, v37
	v_sub_f16_e32 v36, v38, v36
	v_sub_f16_e32 v37, v39, v37
	v_fma_f16 v38, -0.5, v48, v20
	v_sub_f16_e32 v39, v49, v50
	v_sub_f16_e32 v48, v51, v52
	v_fma_f16 v20, -0.5, v55, v20
	v_pk_add_f16 v16, v58, v16
	v_add_f16_e32 v55, v51, v52
	v_add_f16_e32 v58, v49, v50
	v_sub_f16_e32 v22, v22, v34
	v_add_f16_e32 v53, v54, v53
	v_add_f16_e32 v54, v57, v56
	v_sub_f16_e32 v56, v49, v51
	v_sub_f16_e32 v57, v50, v52
	;; [unrolled: 1-line block ×4, first 2 shown]
	v_pk_add_f16 v15, v15, v17
	v_fma_f16 v17, -0.5, v42, v46
	v_add_f16_e32 v42, v43, v44
	v_fmac_f16_e32 v46, -0.5, v45
	v_add_f16_e32 v36, v36, v37
	v_fmamk_f16 v37, v39, 0x3b9c, v38
	v_fmamk_f16 v43, v48, 0xbb9c, v20
	v_fmac_f16_e32 v20, 0x3b9c, v48
	v_pk_add_f16 v16, v16, v18
	v_fma_f16 v44, -0.5, v55, v59
	v_fmac_f16_e32 v59, -0.5, v58
	v_sub_f16_e32 v21, v21, v33
	v_fmac_f16_e32 v38, 0xbb9c, v39
	v_add_f16_e32 v49, v49, v50
	v_fmamk_f16 v50, v47, 0x3b9c, v46
	v_fmac_f16_e32 v46, 0xbb9c, v47
	v_fmac_f16_e32 v37, 0x38b4, v48
	;; [unrolled: 1-line block ×4, first 2 shown]
	v_pk_add_f16 v16, v16, v34
	v_fmamk_f16 v34, v22, 0xbb9c, v44
	v_fmamk_f16 v39, v60, 0x3b9c, v59
	v_fmac_f16_e32 v59, 0xbb9c, v60
	v_fmac_f16_e32 v44, 0x3b9c, v22
	v_fmamk_f16 v51, v61, 0x3b9c, v35
	v_fmac_f16_e32 v35, 0xbb9c, v61
	v_add_f16_e32 v45, v56, v57
	v_pk_add_f16 v18, v15, v33
	v_fmac_f16_e32 v38, 0xb8b4, v48
	v_fmac_f16_e32 v50, 0xb8b4, v21
	;; [unrolled: 1-line block ×9, first 2 shown]
	v_fmamk_f16 v52, v62, 0xbb9c, v19
	v_fmac_f16_e32 v19, 0x3b9c, v62
	v_fmac_f16_e32 v51, 0x38b4, v62
	;; [unrolled: 1-line block ×3, first 2 shown]
	v_fmamk_f16 v33, v21, 0xbb9c, v17
	v_fmac_f16_e32 v38, 0x34f2, v53
	v_fmac_f16_e32 v20, 0x34f2, v54
	v_pk_add_f16 v15, v18, v16
	v_pk_add_f16 v18, v18, v16 neg_lo:[0,1] neg_hi:[0,1]
	v_fmac_f16_e32 v50, 0x34f2, v36
	v_fmac_f16_e32 v46, 0x34f2, v36
	;; [unrolled: 1-line block ×5, first 2 shown]
	v_mul_f16_e32 v16, 0x3a79, v37
	v_mul_f16_e32 v36, 0xb8b4, v37
	v_fmac_f16_e32 v17, 0x3b9c, v21
	v_fmac_f16_e32 v44, 0x34f2, v45
	v_mul_f16_e32 v37, 0xbb9c, v43
	v_fmac_f16_e32 v52, 0x38b4, v61
	v_fmac_f16_e32 v19, 0xb8b4, v61
	;; [unrolled: 1-line block ×5, first 2 shown]
	v_mul_f16_e32 v21, 0xb4f2, v20
	v_mul_f16_e32 v22, 0xba79, v38
	v_fmac_f16_e32 v16, 0x38b4, v34
	v_mul_f16_e32 v40, 0x3b9c, v39
	v_fmac_f16_e32 v36, 0x3a79, v34
	v_mul_f16_e32 v34, 0xb4f2, v59
	v_fmac_f16_e32 v17, 0x38b4, v47
	v_fmac_f16_e32 v37, 0x34f2, v39
	v_mul_f16_e32 v39, 0xba79, v44
	v_fmac_f16_e32 v52, 0x34f2, v41
	v_fmac_f16_e32 v19, 0x34f2, v41
	v_fmac_f16_e32 v33, 0x34f2, v42
	v_fmac_f16_e32 v21, 0x3b9c, v59
	v_fmac_f16_e32 v22, 0x38b4, v44
	v_fmac_f16_e32 v40, 0x34f2, v43
	v_fmac_f16_e32 v34, 0xbb9c, v20
	v_fmac_f16_e32 v17, 0x34f2, v42
	v_fmac_f16_e32 v39, 0xb8b4, v38
	v_add_f16_e32 v41, v51, v16
	v_add_f16_e32 v42, v19, v21
	;; [unrolled: 1-line block ×5, first 2 shown]
	v_sub_f16_e32 v38, v19, v21
	v_sub_f16_e32 v35, v35, v22
	v_add_f16_e32 v21, v52, v40
	v_add_f16_e32 v22, v46, v34
	v_sub_f16_e32 v20, v51, v16
	v_sub_f16_e32 v19, v33, v36
	;; [unrolled: 1-line block ×3, first 2 shown]
	v_add_f16_e32 v36, v17, v39
	v_sub_f16_e32 v37, v52, v40
	v_sub_f16_e32 v40, v46, v34
	;; [unrolled: 1-line block ×3, first 2 shown]
	v_pack_b32_f16 v16, v41, v44
	v_pack_b32_f16 v22, v42, v22
	;; [unrolled: 1-line block ×8, first 2 shown]
	ds_store_2addr_b64 v24, v[15:16], v[21:22] offset1:1
	ds_store_2addr_b64 v24, v[17:18], v[19:20] offset0:2 offset1:3
	ds_store_b64 v24, v[33:34] offset:32
	global_wb scope:SCOPE_SE
	s_wait_dscnt 0x0
	s_barrier_signal -1
	s_barrier_wait -1
	global_inv scope:SCOPE_SE
	s_clause 0x1
	global_load_b128 v[15:18], v14, s[2:3] offset:48
	global_load_b128 v[19:22], v14, s[2:3] offset:64
	ds_load_2addr_b64 v[33:36], v24 offset1:1
	ds_load_2addr_b64 v[37:40], v24 offset0:2 offset1:3
	ds_load_b64 v[41:42], v24 offset:32
	v_lshrrev_b32_e32 v14, 16, v3
	v_lshrrev_b32_e32 v43, 16, v4
	s_lshl_b64 s[2:3], s[12:13], 3
	s_wait_dscnt 0x2
	v_lshrrev_b32_e32 v44, 16, v33
	v_lshrrev_b32_e32 v45, 16, v34
	v_mul_f16_e32 v48, v33, v14
	v_mul_f16_e32 v49, v34, v43
	v_lshrrev_b32_e32 v46, 16, v35
	v_mul_f16_e32 v14, v44, v14
	v_mul_f16_e32 v43, v45, v43
	v_fmac_f16_e32 v48, v44, v3
	v_fmac_f16_e32 v49, v45, v4
	v_lshrrev_b32_e32 v47, 16, v36
	v_fma_f16 v3, v33, v3, -v14
	v_fma_f16 v4, v34, v4, -v43
	s_wait_dscnt 0x1
	v_lshrrev_b32_e32 v50, 16, v37
	v_lshrrev_b32_e32 v51, 16, v38
	;; [unrolled: 1-line block ×4, first 2 shown]
	v_pack_b32_f16 v4, v4, v49
	v_pack_b32_f16 v3, v3, v48
	s_wait_dscnt 0x0
	v_lshrrev_b32_e32 v33, 16, v41
	v_lshrrev_b32_e32 v34, 16, v42
	s_wait_loadcnt 0x1
	v_lshrrev_b32_e32 v43, 16, v15
	v_lshrrev_b32_e32 v44, 16, v16
	;; [unrolled: 1-line block ×4, first 2 shown]
	s_wait_loadcnt 0x0
	v_lshrrev_b32_e32 v49, 16, v19
	v_lshrrev_b32_e32 v53, 16, v20
	;; [unrolled: 1-line block ×4, first 2 shown]
	v_mul_f16_e32 v56, v46, v43
	v_mul_f16_e32 v43, v35, v43
	;; [unrolled: 1-line block ×16, first 2 shown]
	v_fma_f16 v35, v35, v15, -v56
	v_fmac_f16_e32 v43, v46, v15
	v_fma_f16 v15, v36, v16, -v57
	v_fmac_f16_e32 v44, v47, v16
	;; [unrolled: 2-line block ×8, first 2 shown]
	v_pack_b32_f16 v15, v15, v44
	v_pack_b32_f16 v14, v35, v43
	;; [unrolled: 1-line block ×8, first 2 shown]
	ds_store_2addr_b64 v24, v[3:4], v[14:15] offset1:1
	ds_store_2addr_b64 v24, v[18:19], v[16:17] offset0:2 offset1:3
	ds_store_b64 v24, v[20:21] offset:32
	global_wb scope:SCOPE_SE
	s_wait_dscnt 0x0
	s_barrier_signal -1
	s_barrier_wait -1
	global_inv scope:SCOPE_SE
	ds_load_2addr_b64 v[14:17], v24 offset0:2 offset1:3
	ds_load_2addr_b64 v[18:21], v24 offset1:1
	ds_load_b64 v[3:4], v24 offset:32
	v_mad_co_u64_u32 v[33:34], null, s14, v13, 0
	s_delay_alu instid0(VALU_DEP_1)
	v_mov_b32_e32 v22, v34
	s_wait_dscnt 0x2
	v_add_f16_e32 v34, v14, v16
	s_wait_dscnt 0x1
	v_lshrrev_b32_e32 v35, 16, v20
	s_wait_dscnt 0x0
	v_lshrrev_b32_e32 v36, 16, v3
	v_lshrrev_b32_e32 v37, 16, v14
	;; [unrolled: 1-line block ×3, first 2 shown]
	v_sub_f16_e32 v39, v3, v16
	v_sub_f16_e32 v40, v20, v14
	v_add_f16_e32 v41, v20, v3
	v_sub_f16_e32 v42, v16, v3
	v_sub_f16_e32 v43, v14, v20
	v_pk_add_f16 v44, v18, v20
	v_add_f16_e32 v47, v15, v17
	v_lshrrev_b32_e32 v48, 16, v21
	v_lshrrev_b32_e32 v49, 16, v4
	;; [unrolled: 1-line block ×4, first 2 shown]
	v_add_f16_e32 v54, v21, v4
	v_pk_add_f16 v57, v19, v21
	v_lshrrev_b32_e32 v45, 16, v18
	v_sub_f16_e32 v46, v14, v16
	v_sub_f16_e32 v53, v21, v15
	;; [unrolled: 1-line block ×3, first 2 shown]
	v_lshrrev_b32_e32 v58, 16, v19
	v_sub_f16_e32 v59, v15, v17
	v_fma_f16 v34, -0.5, v34, v18
	v_sub_f16_e32 v60, v35, v36
	v_sub_f16_e32 v61, v37, v38
	v_add_f16_e32 v39, v40, v39
	v_fma_f16 v18, -0.5, v41, v18
	v_add_f16_e32 v40, v43, v42
	v_pk_add_f16 v14, v44, v14
	v_add_f16_e32 v41, v37, v38
	v_sub_f16_e32 v42, v35, v37
	v_sub_f16_e32 v43, v36, v38
	v_add_f16_e32 v44, v35, v36
	v_sub_f16_e32 v35, v37, v35
	v_sub_f16_e32 v36, v38, v36
	v_fma_f16 v37, -0.5, v47, v19
	v_sub_f16_e32 v38, v48, v49
	v_sub_f16_e32 v47, v50, v51
	v_fma_f16 v19, -0.5, v54, v19
	v_pk_add_f16 v15, v57, v15
	v_add_f16_e32 v54, v50, v51
	v_add_f16_e32 v57, v48, v49
	v_sub_f16_e32 v52, v4, v17
	v_sub_f16_e32 v55, v17, v4
	;; [unrolled: 1-line block ×3, first 2 shown]
	v_pk_add_f16 v14, v14, v16
	v_fma_f16 v16, -0.5, v41, v45
	v_add_f16_e32 v41, v42, v43
	v_add_f16_e32 v35, v35, v36
	v_fmamk_f16 v36, v38, 0xbb9c, v37
	v_fmac_f16_e32 v37, 0x3b9c, v38
	v_fmamk_f16 v42, v47, 0x3b9c, v19
	v_fmac_f16_e32 v19, 0xbb9c, v47
	v_pk_add_f16 v15, v15, v17
	v_fma_f16 v17, -0.5, v54, v58
	v_fmac_f16_e32 v58, -0.5, v57
	v_add_f16_e32 v52, v53, v52
	v_add_f16_e32 v53, v56, v55
	v_sub_f16_e32 v55, v48, v50
	v_sub_f16_e32 v56, v49, v51
	v_sub_f16_e32 v48, v50, v48
	v_sub_f16_e32 v49, v51, v49
	v_fmac_f16_e32 v36, 0xb8b4, v47
	v_fmac_f16_e32 v37, 0x38b4, v47
	;; [unrolled: 1-line block ×4, first 2 shown]
	v_fmamk_f16 v38, v21, 0x3b9c, v17
	v_fmamk_f16 v47, v59, 0xbb9c, v58
	v_fmac_f16_e32 v58, 0x3b9c, v59
	v_fmac_f16_e32 v45, -0.5, v44
	v_fmac_f16_e32 v17, 0xbb9c, v21
	v_sub_f16_e32 v20, v20, v3
	v_fmamk_f16 v50, v60, 0xbb9c, v34
	v_fmac_f16_e32 v34, 0x3b9c, v60
	v_add_f16_e32 v43, v55, v56
	v_add_f16_e32 v44, v48, v49
	v_pk_add_f16 v14, v14, v3
	v_pk_add_f16 v4, v15, v4
	v_fmac_f16_e32 v36, 0x34f2, v52
	v_fmac_f16_e32 v38, 0x38b4, v59
	;; [unrolled: 1-line block ×4, first 2 shown]
	v_fmamk_f16 v49, v46, 0xbb9c, v45
	v_fmac_f16_e32 v45, 0x3b9c, v46
	v_fmac_f16_e32 v17, 0xb8b4, v59
	v_fmamk_f16 v51, v61, 0x3b9c, v18
	v_fmac_f16_e32 v18, 0xbb9c, v61
	v_fmac_f16_e32 v50, 0xb8b4, v61
	;; [unrolled: 1-line block ×3, first 2 shown]
	v_fmamk_f16 v48, v20, 0x3b9c, v16
	v_pk_add_f16 v3, v14, v4
	v_pk_add_f16 v15, v14, v4 neg_lo:[0,1] neg_hi:[0,1]
	v_fmac_f16_e32 v38, 0x34f2, v43
	v_fmac_f16_e32 v47, 0x34f2, v44
	;; [unrolled: 1-line block ×3, first 2 shown]
	v_mul_f16_e32 v4, 0x38b4, v36
	v_fmac_f16_e32 v16, 0xbb9c, v20
	v_fmac_f16_e32 v49, 0x38b4, v20
	;; [unrolled: 1-line block ×11, first 2 shown]
	v_mul_f16_e32 v14, 0xb8b4, v38
	v_mul_f16_e32 v20, 0xbb9c, v47
	;; [unrolled: 1-line block ×3, first 2 shown]
	v_fmac_f16_e32 v4, 0x3a79, v38
	v_mul_f16_e32 v38, 0x34f2, v47
	v_mul_f16_e32 v39, 0xb4f2, v58
	v_fmac_f16_e32 v16, 0xb8b4, v46
	v_fmac_f16_e32 v37, 0x34f2, v52
	;; [unrolled: 1-line block ×4, first 2 shown]
	v_mul_f16_e32 v35, 0xb8b4, v17
	v_mul_f16_e32 v17, 0xba79, v17
	v_fmac_f16_e32 v51, 0x34f2, v40
	v_fmac_f16_e32 v18, 0x34f2, v40
	;; [unrolled: 1-line block ×11, first 2 shown]
	v_add_f16_e32 v36, v48, v4
	v_sub_f16_e32 v37, v48, v4
	v_add_f16_e32 v4, v50, v14
	v_add_f16_e32 v19, v51, v20
	;; [unrolled: 1-line block ×7, first 2 shown]
	v_sub_f16_e32 v14, v50, v14
	v_sub_f16_e32 v20, v51, v20
	;; [unrolled: 1-line block ×7, first 2 shown]
	v_pack_b32_f16 v17, v40, v43
	v_pack_b32_f16 v16, v19, v42
	;; [unrolled: 1-line block ×8, first 2 shown]
	ds_store_2addr_b64 v24, v[3:4], v[16:17] offset1:1
	ds_store_2addr_b64 v24, v[14:15], v[18:19] offset0:2 offset1:3
	ds_store_b64 v24, v[20:21] offset:32
	global_wb scope:SCOPE_SE
	s_wait_dscnt 0x0
	s_barrier_signal -1
	s_barrier_wait -1
	global_inv scope:SCOPE_SE
	ds_load_2addr_b64 v[17:20], v24 offset1:1
	v_mad_co_u64_u32 v[34:35], null, s15, v13, v[22:23]
	ds_load_2addr_b64 v[13:16], v24 offset0:2 offset1:3
	s_mov_b32 s14, 0x9999999a
	s_mov_b32 s15, 0x3fb99999
	v_lshlrev_b64_e32 v[3:4], 2, v[33:34]
	s_delay_alu instid0(VALU_DEP_1) | instskip(SKIP_1) | instid1(VALU_DEP_2)
	v_add_co_u32 v3, vcc_lo, s0, v3
	s_wait_alu 0xfffd
	v_add_co_ci_u32_e32 v4, vcc_lo, s1, v4, vcc_lo
	s_lshl_b64 s[0:1], s[12:13], 2
	s_wait_dscnt 0x1
	v_lshrrev_b32_e32 v33, 16, v17
	v_mul_f16_e32 v37, v32, v17
	v_lshrrev_b32_e32 v34, 16, v18
	v_mul_f16_e32 v38, v31, v18
	;; [unrolled: 2-line block ×3, first 2 shown]
	v_fma_f16 v32, v9, v33, -v37
	v_lshrrev_b32_e32 v36, 16, v20
	v_mul_f16_e32 v39, v30, v19
	v_mul_f16_e32 v40, v28, v20
	s_wait_dscnt 0x0
	v_lshrrev_b32_e32 v41, 16, v13
	v_mul_f16_e32 v37, v31, v34
	v_fma_f16 v31, v10, v34, -v38
	v_cvt_f32_f16_e32 v32, v32
	v_mul_f16_e32 v44, v29, v13
	v_mul_f16_e32 v34, v30, v35
	v_fma_f16 v30, v11, v35, -v39
	v_mul_f16_e32 v35, v28, v36
	v_fma_f16 v33, v12, v36, -v40
	v_mul_f16_e32 v36, v29, v41
	v_cvt_f32_f16_e32 v31, v31
	v_cvt_f64_f32_e32 v[28:29], v32
	v_lshrrev_b32_e32 v42, 16, v14
	v_lshrrev_b32_e32 v43, 16, v15
	v_cvt_f32_f16_e32 v32, v30
	v_cvt_f64_f32_e32 v[30:31], v31
	v_mul_f16_e32 v45, v27, v14
	v_mul_f16_e32 v46, v26, v15
	v_fma_f16 v38, v5, v41, -v44
	v_cvt_f32_f16_e32 v33, v33
	v_mul_f16_e32 v39, v27, v42
	v_mul_f16_e32 v41, v26, v43
	v_cvt_f64_f32_e32 v[26:27], v32
	v_fma_f16 v40, v6, v42, -v45
	v_cvt_f64_f32_e32 v[32:33], v33
	v_cvt_f32_f16_e32 v38, v38
	v_fmac_f16_e32 v47, v9, v17
	v_fmac_f16_e32 v37, v10, v18
	v_cvt_f32_f16_e32 v17, v40
	v_fmac_f16_e32 v34, v11, v19
	v_cvt_f64_f32_e32 v[9:10], v38
	v_cvt_f32_f16_e32 v11, v47
	v_fma_f16 v42, v7, v43, -v46
	v_cvt_f64_f32_e32 v[17:18], v17
	v_fmac_f16_e32 v36, v5, v13
	v_fmac_f16_e32 v39, v6, v14
	v_cvt_f64_f32_e32 v[5:6], v11
	v_cvt_f32_f16_e32 v11, v37
	v_fmac_f16_e32 v35, v12, v20
	v_fmac_f16_e32 v41, v7, v15
	v_cvt_f32_f16_e32 v7, v42
	v_cvt_f32_f16_e32 v12, v34
	v_cvt_f64_f32_e32 v[13:14], v11
	v_cvt_f32_f16_e32 v15, v35
	v_mad_co_u64_u32 v[21:22], null, s12, 12, v[3:4]
	v_cvt_f64_f32_e32 v[19:20], v7
	v_cvt_f64_f32_e32 v[34:35], v12
	v_cvt_f32_f16_e32 v38, v36
	s_wait_alu 0xfffe
	v_mul_f64_e32 v[28:29], s[14:15], v[28:29]
	v_cvt_f64_f32_e32 v[36:37], v15
	v_cvt_f32_f16_e32 v40, v39
	v_mov_b32_e32 v11, v22
	v_mul_f64_e32 v[30:31], s[14:15], v[30:31]
	v_cvt_f64_f32_e32 v[38:39], v38
	v_cvt_f32_f16_e32 v42, v41
	v_cvt_f64_f32_e32 v[40:41], v40
	v_mad_co_u64_u32 v[46:47], null, s13, 12, v[11:12]
	v_add_co_u32 v44, vcc_lo, v3, s0
	v_mul_f64_e32 v[26:27], s[14:15], v[26:27]
	v_mul_f64_e32 v[32:33], s[14:15], v[32:33]
	v_cvt_f64_f32_e32 v[42:43], v42
	s_wait_alu 0xfffd
	v_add_co_ci_u32_e32 v45, vcc_lo, s1, v4, vcc_lo
	v_add_co_u32 v49, vcc_lo, v3, s2
	v_mul_f64_e32 v[47:48], s[14:15], v[9:10]
	s_wait_alu 0xfffd
	v_add_co_ci_u32_e32 v50, vcc_lo, s3, v4, vcc_lo
	v_mul_f64_e32 v[17:18], s[14:15], v[17:18]
	v_add_co_u32 v11, vcc_lo, v3, s4
	v_mul_f64_e32 v[51:52], s[14:15], v[5:6]
	s_wait_alu 0xfffd
	v_add_co_ci_u32_e32 v12, vcc_lo, s5, v4, vcc_lo
	v_lshrrev_b32_e32 v7, 16, v16
	v_mul_f64_e32 v[13:14], s[14:15], v[13:14]
	s_delay_alu instid0(VALU_DEP_2)
	v_mul_f16_e32 v9, v25, v7
	v_mul_f64_e32 v[5:6], s[14:15], v[19:20]
	v_mul_f64_e32 v[19:20], s[14:15], v[34:35]
	v_and_or_b32 v28, 0x1ff, v29, v28
	v_mul_f64_e32 v[34:35], s[14:15], v[36:37]
	v_fmac_f16_e32 v9, v8, v16
	v_mul_f16_e32 v16, v25, v16
	v_and_or_b32 v30, 0x1ff, v31, v30
	v_cmp_ne_u32_e32 vcc_lo, 0, v28
	v_mul_f64_e32 v[36:37], s[14:15], v[38:39]
	v_mul_f64_e32 v[38:39], s[14:15], v[40:41]
	v_cvt_f32_f16_e32 v15, v9
	v_lshrrev_b32_e32 v40, 8, v29
	s_wait_alu 0xfffd
	v_cndmask_b32_e64 v28, 0, 1, vcc_lo
	v_cmp_ne_u32_e32 vcc_lo, 0, v30
	v_and_or_b32 v26, 0x1ff, v27, v26
	v_and_or_b32 v32, 0x1ff, v33, v32
	v_mul_f64_e32 v[9:10], s[14:15], v[42:43]
	v_lshrrev_b32_e32 v42, 8, v31
	s_wait_alu 0xfffd
	v_cndmask_b32_e64 v30, 0, 1, vcc_lo
	v_cmp_ne_u32_e32 vcc_lo, 0, v26
	v_bfe_u32 v43, v31, 20, 11
	v_and_or_b32 v47, 0x1ff, v48, v47
	v_bfe_u32 v53, v27, 20, 11
	v_mov_b32_e32 v22, v46
	s_wait_alu 0xfffd
	v_cndmask_b32_e64 v26, 0, 1, vcc_lo
	v_cmp_ne_u32_e32 vcc_lo, 0, v32
	v_and_or_b32 v17, 0x1ff, v18, v17
	v_and_or_b32 v51, 0x1ff, v52, v51
	v_lshrrev_b32_e32 v46, 8, v27
	v_bfe_u32 v55, v33, 20, 11
	s_wait_alu 0xfffd
	v_cndmask_b32_e64 v32, 0, 1, vcc_lo
	v_cmp_ne_u32_e32 vcc_lo, 0, v47
	v_sub_nc_u32_e32 v65, 0x3f1, v43
	v_add_nc_u32_e32 v43, 0xfffffc10, v43
	v_and_or_b32 v13, 0x1ff, v14, v13
	v_sub_nc_u32_e32 v68, 0x3f1, v53
	s_wait_alu 0xfffd
	v_cndmask_b32_e64 v47, 0, 1, vcc_lo
	v_cmp_ne_u32_e32 vcc_lo, 0, v17
	v_and_or_b32 v19, 0x1ff, v20, v19
	v_and_or_b32 v30, 0xffe, v42, v30
	v_lshrrev_b32_e32 v54, 8, v33
	v_and_or_b32 v34, 0x1ff, v35, v34
	s_wait_alu 0xfffd
	v_cndmask_b32_e64 v17, 0, 1, vcc_lo
	v_cmp_ne_u32_e32 vcc_lo, 0, v51
	v_lshrrev_b32_e32 v56, 8, v48
	v_bfe_u32 v57, v48, 20, 11
	v_bfe_u32 v59, v18, 20, 11
	v_sub_nc_u32_e32 v71, 0x3f1, v55
	s_wait_alu 0xfffd
	v_cndmask_b32_e64 v51, 0, 1, vcc_lo
	v_cmp_ne_u32_e32 vcc_lo, 0, v13
	v_and_or_b32 v36, 0x1ff, v37, v36
	v_med3_i32 v42, v65, 0, 13
	v_and_or_b32 v26, 0xffe, v46, v26
	v_med3_i32 v46, v68, 0, 13
	s_wait_alu 0xfffd
	v_cndmask_b32_e64 v13, 0, 1, vcc_lo
	v_cmp_ne_u32_e32 vcc_lo, 0, v19
	v_or_b32_e32 v68, 0x1000, v30
	v_lshrrev_b32_e32 v58, 8, v18
	v_bfe_u32 v61, v52, 20, 11
	v_sub_nc_u32_e32 v74, 0x3f1, v57
	s_wait_alu 0xfffd
	v_cndmask_b32_e64 v19, 0, 1, vcc_lo
	v_cmp_ne_u32_e32 vcc_lo, 0, v34
	v_and_or_b32 v38, 0x1ff, v39, v38
	v_sub_nc_u32_e32 v77, 0x3f1, v59
	v_and_or_b32 v32, 0xffe, v54, v32
	v_med3_i32 v54, v71, 0, 13
	s_wait_alu 0xfffd
	v_cndmask_b32_e64 v34, 0, 1, vcc_lo
	v_lshrrev_b32_e32 v71, v42, v68
	v_cmp_ne_u32_e32 vcc_lo, 0, v36
	v_and_or_b32 v47, 0xffe, v56, v47
	v_lshrrev_b32_e32 v60, 8, v52
	v_sub_nc_u32_e32 v78, 0x3f1, v61
	v_lshlrev_b32_e32 v42, v42, v71
	s_wait_alu 0xfffd
	v_cndmask_b32_e64 v36, 0, 1, vcc_lo
	v_med3_i32 v56, v74, 0, 13
	v_or_b32_e32 v74, 0x1000, v32
	v_cmp_ne_u32_e32 vcc_lo, 0, v38
	v_and_or_b32 v17, 0xffe, v58, v17
	v_med3_i32 v58, v77, 0, 13
	v_or_b32_e32 v77, 0x1000, v47
	v_bfe_u32 v41, v29, 20, 11
	v_lshrrev_b32_e32 v63, 8, v14
	v_and_or_b32 v9, 0x1ff, v10, v9
	v_and_or_b32 v28, 0xffe, v40, v28
	s_wait_alu 0xfffd
	v_cndmask_b32_e64 v38, 0, 1, vcc_lo
	v_cmp_ne_u32_e32 vcc_lo, v42, v68
	v_lshrrev_b32_e32 v68, v54, v74
	v_and_or_b32 v51, 0xffe, v60, v51
	v_med3_i32 v60, v78, 0, 13
	v_lshrrev_b32_e32 v78, v56, v77
	v_sub_nc_u32_e32 v62, 0x3f1, v41
	v_add_nc_u32_e32 v41, 0xfffffc10, v41
	v_bfe_u32 v64, v14, 20, 11
	v_lshlrev_b32_e32 v54, v54, v68
	v_cmp_ne_u32_e64 s0, 0, v9
	v_and_or_b32 v13, 0xffe, v63, v13
	v_lshlrev_b32_e32 v56, v56, v78
	v_or_b32_e32 v63, 0x1000, v17
	v_cmp_ne_u32_e64 s1, 0, v28
	v_lshrrev_b32_e32 v66, 8, v20
	v_bfe_u32 v67, v20, 20, 11
	v_lshrrev_b32_e32 v69, 8, v35
	v_lshrrev_b32_e32 v72, 8, v37
	v_med3_i32 v40, v62, 0, 13
	v_sub_nc_u32_e32 v62, 0x3f1, v64
	s_wait_alu 0xf1ff
	v_cndmask_b32_e64 v9, 0, 1, s0
	v_cmp_ne_u32_e64 s0, v54, v74
	v_or_b32_e32 v54, 0x1000, v28
	v_lshl_or_b32 v74, v41, 12, v28
	v_cndmask_b32_e64 v28, 0, 1, s1
	v_cmp_ne_u32_e64 s1, v56, v77
	v_or_b32_e32 v56, 0x1000, v51
	v_lshrrev_b32_e32 v77, v58, v63
	v_bfe_u32 v70, v35, 20, 11
	v_sub_nc_u32_e32 v65, 0x3f1, v67
	v_med3_i32 v62, v62, 0, 13
	v_and_or_b32 v19, 0xffe, v66, v19
	v_and_or_b32 v34, 0xffe, v69, v34
	v_lshrrev_b32_e32 v69, v60, v56
	v_lshlrev_b32_e32 v58, v58, v77
	v_and_or_b32 v36, 0xffe, v72, v36
	v_or_b32_e32 v72, 0x1000, v13
	v_bfe_u32 v73, v37, 20, 11
	v_lshrrev_b32_e32 v75, 8, v39
	v_bfe_u32 v76, v39, 20, 11
	v_sub_nc_u32_e32 v79, 0x3f1, v70
	v_med3_i32 v65, v65, 0, 13
	v_lshlrev_b32_e32 v60, v60, v69
	v_cmp_ne_u32_e64 s2, v58, v63
	v_or_b32_e32 v58, 0x1000, v19
	v_lshrrev_b32_e32 v63, v62, v72
	v_sub_nc_u32_e32 v80, 0x3f1, v73
	v_sub_nc_u32_e32 v42, 0x3f1, v76
	v_med3_i32 v79, v79, 0, 13
	v_cmp_ne_u32_e64 s3, v60, v56
	v_or_b32_e32 v56, 0x1000, v34
	v_lshrrev_b32_e32 v60, v65, v58
	v_lshlrev_b32_e32 v62, v62, v63
	v_and_or_b32 v38, 0xffe, v75, v38
	v_med3_i32 v80, v80, 0, 13
	v_lshrrev_b32_e32 v75, v79, v56
	v_lshlrev_b32_e32 v65, v65, v60
	v_cmp_ne_u32_e64 s4, v62, v72
	v_or_b32_e32 v62, 0x1000, v36
	v_med3_i32 v42, v42, 0, 13
	v_or_b32_e32 v72, 0x1000, v38
	v_lshlrev_b32_e32 v79, v79, v75
	v_cmp_ne_u32_e64 s5, v65, v58
	v_lshrrev_b32_e32 v58, v80, v62
	v_cmp_ne_u32_e64 s6, 0, v30
	v_lshrrev_b32_e32 v65, v42, v72
	v_add_nc_u32_e32 v53, 0xfffffc10, v53
	v_lshl_or_b32 v66, v43, 12, v30
	v_cmp_ne_u32_e64 s7, 0, v26
	v_cndmask_b32_e64 v30, 0, 1, s6
	v_cmp_ne_u32_e64 s6, v79, v56
	v_or_b32_e32 v56, 0x1000, v26
	v_lshlrev_b32_e32 v79, v80, v58
	v_lshlrev_b32_e32 v42, v42, v65
	v_add_nc_u32_e32 v55, 0xfffffc10, v55
	v_lshl_or_b32 v80, v53, 12, v26
	v_cndmask_b32_e64 v26, 0, 1, s7
	v_cmp_ne_u32_e64 s7, v79, v62
	v_lshrrev_b32_e32 v79, v40, v54
	v_cmp_ne_u32_e64 s8, v42, v72
	v_lshrrev_b32_e32 v42, v46, v56
	v_cmp_ne_u32_e64 s9, 0, v32
	v_add_nc_u32_e32 v57, 0xfffffc10, v57
	v_lshl_or_b32 v62, v55, 12, v32
	v_lshlrev_b32_e32 v40, v40, v79
	v_lshlrev_b32_e32 v46, v46, v42
	s_wait_alu 0xf1ff
	v_cndmask_b32_e64 v32, 0, 1, s9
	v_cmp_ne_u32_e64 s9, 0, v47
	v_lshl_or_b32 v72, v57, 12, v47
	v_add_nc_u32_e32 v64, 0xfffffc10, v64
	v_add_nc_u32_e32 v70, 0xfffffc10, v70
	;; [unrolled: 1-line block ×3, first 2 shown]
	s_wait_alu 0xf1ff
	v_cndmask_b32_e64 v47, 0, 1, s9
	v_cmp_ne_u32_e64 s9, v40, v54
	s_wait_alu 0xfffd
	v_cndmask_b32_e64 v54, 0, 1, vcc_lo
	v_cmp_ne_u32_e32 vcc_lo, v46, v56
	v_lshl_or_b32 v28, v28, 9, 0x7c00
	v_lshl_or_b32 v30, v30, 9, 0x7c00
	s_wait_alu 0xf1ff
	v_cndmask_b32_e64 v40, 0, 1, s9
	v_or_b32_e32 v54, v71, v54
	s_wait_alu 0xfffd
	v_cndmask_b32_e64 v56, 0, 1, vcc_lo
	v_cmp_ne_u32_e32 vcc_lo, 0, v51
	v_lshl_or_b32 v26, v26, 9, 0x7c00
	v_or_b32_e32 v40, v79, v40
	v_cndmask_b32_e64 v79, 0, 1, s0
	v_or_b32_e32 v42, v42, v56
	v_cndmask_b32_e64 v56, 0, 1, s1
	v_lshl_or_b32 v32, v32, 9, 0x7c00
	v_lshl_or_b32 v47, v47, 9, 0x7c00
	v_or_b32_e32 v68, v68, v79
	v_cndmask_b32_e64 v79, 0, 1, s2
	v_or_b32_e32 v56, v78, v56
	v_add_nc_u32_e32 v61, 0xfffffc10, v61
	v_cndmask_b32_e64 v78, 0, 1, s3
	v_lshrrev_b32_e32 v14, 16, v14
	v_or_b32_e32 v77, v77, v79
	v_lshl_or_b32 v79, v64, 12, v13
	v_lshl_or_b32 v71, v61, 12, v51
	s_wait_alu 0xfffd
	v_cndmask_b32_e64 v51, 0, 1, vcc_lo
	v_cmp_ne_u32_e32 vcc_lo, 0, v13
	v_add_nc_u32_e32 v67, 0xfffffc10, v67
	v_or_b32_e32 v69, v69, v78
	v_cndmask_b32_e64 v78, 0, 1, s4
	v_lshl_or_b32 v51, v51, 9, 0x7c00
	s_wait_alu 0xfffd
	v_cndmask_b32_e64 v13, 0, 1, vcc_lo
	v_cmp_gt_i32_e32 vcc_lo, 1, v41
	v_lshrrev_b32_e32 v27, 16, v27
	v_or_b32_e32 v63, v63, v78
	v_cndmask_b32_e64 v78, 0, 1, s5
	v_lshl_or_b32 v13, v13, 9, 0x7c00
	s_wait_alu 0xfffd
	v_cndmask_b32_e32 v40, v74, v40, vcc_lo
	v_cmp_ne_u32_e32 vcc_lo, 0, v19
	v_lshl_or_b32 v74, v67, 12, v19
	v_or_b32_e32 v60, v60, v78
	v_add_nc_u32_e32 v73, 0xfffffc10, v73
	v_cndmask_b32_e64 v78, 0, 1, s6
	s_wait_alu 0xfffd
	v_cndmask_b32_e64 v19, 0, 1, vcc_lo
	v_cmp_gt_i32_e32 vcc_lo, 1, v43
	v_lshrrev_b32_e32 v20, 16, v20
	v_lshrrev_b32_e32 v35, 16, v35
	v_or_b32_e32 v75, v75, v78
	v_lshl_or_b32 v78, v76, 12, v38
	s_wait_alu 0xfffd
	v_cndmask_b32_e32 v54, v66, v54, vcc_lo
	v_cmp_ne_u32_e32 vcc_lo, 0, v34
	v_lshl_or_b32 v66, v70, 12, v34
	v_lshl_or_b32 v19, v19, 9, 0x7c00
	v_lshrrev_b32_e32 v29, 16, v29
	v_lshrrev_b32_e32 v31, 16, v31
	s_wait_alu 0xfffd
	v_cndmask_b32_e64 v34, 0, 1, vcc_lo
	v_cmp_gt_i32_e32 vcc_lo, 1, v53
	v_lshrrev_b32_e32 v33, 16, v33
	v_lshrrev_b32_e32 v52, 16, v52
	v_and_or_b32 v5, 0x1ff, v6, v5
	v_lshl_or_b32 v34, v34, 9, 0x7c00
	s_wait_alu 0xfffd
	v_cndmask_b32_e32 v42, v80, v42, vcc_lo
	v_cmp_ne_u32_e32 vcc_lo, 0, v36
	v_lshl_or_b32 v80, v73, 12, v36
	v_lshrrev_b32_e32 v18, 16, v18
	v_fma_f16 v7, v8, v7, -v16
	v_lshrrev_b32_e32 v37, 16, v37
	s_wait_alu 0xfffd
	v_cndmask_b32_e64 v36, 0, 1, vcc_lo
	v_cmp_gt_i32_e32 vcc_lo, 1, v55
	v_add_nc_u32_e32 v59, 0xfffffc10, v59
	v_lshrrev_b32_e32 v16, 8, v6
	v_bfe_u32 v25, v6, 20, 11
	v_lshl_or_b32 v36, v36, 9, 0x7c00
	s_wait_alu 0xfffd
	v_cndmask_b32_e32 v62, v62, v68, vcc_lo
	v_cmp_ne_u32_e32 vcc_lo, 0, v38
	v_lshl_or_b32 v46, v59, 12, v17
	v_cndmask_b32_e64 v68, 0, 1, s7
	v_lshrrev_b32_e32 v48, 16, v48
	s_wait_alu 0xfffd
	v_cndmask_b32_e64 v38, 0, 1, vcc_lo
	v_cmp_gt_i32_e32 vcc_lo, 1, v57
	v_or_b32_e32 v58, v58, v68
	v_cndmask_b32_e64 v68, 0, 1, s8
	s_wait_alu 0xfffd
	v_cndmask_b32_e32 v56, v72, v56, vcc_lo
	v_cmp_gt_i32_e32 vcc_lo, 1, v59
	s_delay_alu instid0(VALU_DEP_3)
	v_or_b32_e32 v65, v65, v68
	v_and_b32_e32 v72, 7, v42
	v_lshrrev_b32_e32 v42, 2, v42
	s_wait_alu 0xfffd
	v_cndmask_b32_e32 v46, v46, v77, vcc_lo
	v_cmp_gt_i32_e32 vcc_lo, 1, v61
	v_cmp_lt_i32_e64 s3, 5, v72
	v_cmp_eq_u32_e64 s4, 3, v72
	s_wait_alu 0xfffd
	v_cndmask_b32_e32 v68, v71, v69, vcc_lo
	v_cmp_gt_i32_e32 vcc_lo, 1, v64
	s_delay_alu instid0(VALU_DEP_3)
	s_or_b32 s3, s4, s3
	s_wait_alu 0xfffe
	v_add_co_ci_u32_e64 v42, s3, 0, v42, s3
	s_wait_alu 0xfffd
	v_cndmask_b32_e32 v63, v79, v63, vcc_lo
	v_cmp_gt_i32_e32 vcc_lo, 1, v67
	s_wait_alu 0xfffd
	v_cndmask_b32_e32 v60, v74, v60, vcc_lo
	v_cmp_gt_i32_e32 vcc_lo, 1, v70
	v_and_b32_e32 v74, 7, v62
	v_lshrrev_b32_e32 v62, 2, v62
	s_wait_alu 0xfffd
	v_dual_cndmask_b32 v66, v66, v75 :: v_dual_and_b32 v75, 7, v56
	v_lshrrev_b32_e32 v56, 2, v56
	v_cmp_gt_i32_e32 vcc_lo, 1, v73
	v_cmp_lt_i32_e64 s5, 5, v74
	v_cmp_eq_u32_e64 s6, 3, v74
	v_cmp_lt_i32_e64 s7, 5, v75
	v_cmp_eq_u32_e64 s8, 3, v75
	s_wait_alu 0xfffd
	v_cndmask_b32_e32 v58, v80, v58, vcc_lo
	v_cmp_gt_i32_e32 vcc_lo, 1, v76
	s_or_b32 s5, s6, s5
	v_and_b32_e32 v72, 7, v66
	s_or_b32 s7, s8, s7
	s_wait_alu 0xfffe
	v_add_co_ci_u32_e64 v62, s5, 0, v62, s5
	v_add_co_ci_u32_e64 v56, s7, 0, v56, s7
	v_and_b32_e32 v71, 7, v54
	v_lshrrev_b32_e32 v54, 2, v54
	s_wait_alu 0xfffd
	v_dual_cndmask_b32 v65, v78, v65 :: v_dual_and_b32 v78, 7, v68
	v_lshrrev_b32_e32 v68, 2, v68
	v_cmp_lt_i32_e64 s1, 5, v71
	v_cmp_eq_u32_e64 s2, 3, v71
	v_cmp_lt_i32_e64 s3, 5, v72
	v_cmp_lt_i32_e64 s10, 5, v78
	v_cmp_eq_u32_e64 s11, 3, v78
	v_cmp_eq_u32_e64 s4, 3, v72
	s_or_b32 s1, s2, s1
	v_lshrrev_b32_e32 v66, 2, v66
	s_wait_alu 0xfffe
	v_add_co_ci_u32_e64 v54, s1, 0, v54, s1
	v_and_b32_e32 v69, 7, v40
	v_lshrrev_b32_e32 v40, 2, v40
	v_and_b32_e32 v74, 7, v58
	s_or_b32 s10, s11, s10
	v_lshrrev_b32_e32 v58, 2, v58
	v_cmp_lt_i32_e32 vcc_lo, 5, v69
	v_cmp_eq_u32_e64 s0, 3, v69
	v_and_b32_e32 v69, 7, v63
	v_lshrrev_b32_e32 v63, 2, v63
	s_wait_alu 0xfffe
	v_add_co_ci_u32_e64 v68, s10, 0, v68, s10
	s_or_b32 vcc_lo, s0, vcc_lo
	v_cmp_eq_u32_e64 s0, 3, v69
	s_wait_alu 0xfffe
	v_add_co_ci_u32_e32 v40, vcc_lo, 0, v40, vcc_lo
	v_cmp_lt_i32_e32 vcc_lo, 5, v69
	v_cmp_gt_i32_e64 s10, 31, v41
	v_cmp_lt_i32_e64 s5, 5, v74
	v_cmp_eq_u32_e64 s6, 3, v74
	s_or_b32 vcc_lo, s0, vcc_lo
	s_delay_alu instid0(VALU_DEP_3)
	v_cndmask_b32_e64 v40, 0x7c00, v40, s10
	s_wait_alu 0xfffe
	v_add_co_ci_u32_e32 v63, vcc_lo, 0, v63, vcc_lo
	v_and_b32_e32 v71, 7, v60
	v_cmp_gt_i32_e32 vcc_lo, 31, v43
	v_lshrrev_b32_e32 v60, 2, v60
	v_and_b32_e32 v75, 7, v65
	v_lshrrev_b32_e32 v65, 2, v65
	v_cmp_lt_i32_e64 s1, 5, v71
	v_cmp_eq_u32_e64 s2, 3, v71
	s_wait_alu 0xfffd
	v_cndmask_b32_e32 v54, 0x7c00, v54, vcc_lo
	v_cmp_lt_i32_e64 s7, 5, v75
	v_cmp_eq_u32_e64 s8, 3, v75
	s_or_b32 vcc_lo, s2, s1
	s_wait_alu 0xfffe
	v_add_co_ci_u32_e32 v60, vcc_lo, 0, v60, vcc_lo
	v_cmp_gt_i32_e32 vcc_lo, 31, v53
	s_wait_alu 0xfffd
	v_cndmask_b32_e32 v42, 0x7c00, v42, vcc_lo
	s_or_b32 vcc_lo, s4, s3
	s_wait_alu 0xfffe
	v_add_co_ci_u32_e32 v66, vcc_lo, 0, v66, vcc_lo
	v_cmp_gt_i32_e32 vcc_lo, 31, v55
	s_wait_alu 0xfffd
	v_cndmask_b32_e32 v62, 0x7c00, v62, vcc_lo
	s_or_b32 vcc_lo, s6, s5
	s_wait_alu 0xfffe
	v_add_co_ci_u32_e32 v58, vcc_lo, 0, v58, vcc_lo
	v_cmp_gt_i32_e32 vcc_lo, 31, v57
	s_wait_alu 0xfffd
	v_cndmask_b32_e32 v56, 0x7c00, v56, vcc_lo
	s_or_b32 vcc_lo, s8, s7
	s_wait_alu 0xfffe
	v_add_co_ci_u32_e32 v65, vcc_lo, 0, v65, vcc_lo
	v_cmp_gt_i32_e32 vcc_lo, 31, v61
	s_wait_alu 0xfffd
	v_dual_cndmask_b32 v68, 0x7c00, v68 :: v_dual_and_b32 v77, 7, v46
	v_cmp_eq_u32_e32 vcc_lo, 0x40f, v41
	s_delay_alu instid0(VALU_DEP_2) | instskip(SKIP_3) | instid1(VALU_DEP_2)
	v_cmp_lt_i32_e64 s9, 5, v77
	s_wait_alu 0xfffd
	v_cndmask_b32_e32 v28, v40, v28, vcc_lo
	v_cmp_gt_i32_e32 vcc_lo, 31, v64
	v_and_or_b32 v28, 0x8000, v29, v28
	s_wait_alu 0xfffd
	v_cndmask_b32_e32 v40, 0x7c00, v63, vcc_lo
	v_cmp_eq_u32_e32 vcc_lo, 0x40f, v43
	s_wait_alu 0xfffd
	v_cndmask_b32_e32 v30, v54, v30, vcc_lo
	v_cmp_gt_i32_e32 vcc_lo, 31, v67
	s_delay_alu instid0(VALU_DEP_2)
	v_and_or_b32 v29, 0x8000, v31, v30
	s_wait_alu 0xfffd
	v_cndmask_b32_e32 v41, 0x7c00, v60, vcc_lo
	v_cmp_eq_u32_e32 vcc_lo, 0x40f, v53
	s_wait_alu 0xfffd
	v_cndmask_b32_e32 v26, v42, v26, vcc_lo
	v_cmp_gt_i32_e32 vcc_lo, 31, v70
	s_wait_alu 0xfffd
	v_cndmask_b32_e32 v42, 0x7c00, v66, vcc_lo
	v_cmp_eq_u32_e32 vcc_lo, 0x40f, v55
	s_wait_alu 0xfffd
	v_cndmask_b32_e32 v32, v62, v32, vcc_lo
	v_cmp_gt_i32_e32 vcc_lo, 31, v73
	;; [unrolled: 6-line block ×3, first 2 shown]
	s_wait_alu 0xfffd
	v_cndmask_b32_e32 v53, 0x7c00, v65, vcc_lo
	v_cmp_eq_u32_e32 vcc_lo, 0x40f, v61
	s_wait_alu 0xfffd
	v_cndmask_b32_e32 v51, v68, v51, vcc_lo
	v_cmp_eq_u32_e32 vcc_lo, 0x40f, v64
	;; [unrolled: 3-line block ×3, first 2 shown]
	s_delay_alu instid0(VALU_DEP_2) | instskip(SKIP_3) | instid1(VALU_DEP_3)
	v_and_or_b32 v13, 0x8000, v14, v13
	s_wait_alu 0xfffd
	v_cndmask_b32_e32 v19, v41, v19, vcc_lo
	v_cmp_eq_u32_e32 vcc_lo, 0x40f, v70
	v_and_b32_e32 v13, 0xffff, v13
	v_and_or_b32 v26, 0x8000, v27, v26
	s_wait_alu 0xfffd
	v_cndmask_b32_e32 v27, v42, v34, vcc_lo
	v_and_or_b32 v14, 0x8000, v20, v19
	v_cmp_eq_u32_e32 vcc_lo, 0x40f, v73
	v_lshl_or_b32 v13, v29, 16, v13
	s_delay_alu instid0(VALU_DEP_4) | instskip(SKIP_3) | instid1(VALU_DEP_3)
	v_and_or_b32 v19, 0x8000, v35, v27
	s_wait_alu 0xfffd
	v_dual_cndmask_b32 v31, v43, v36 :: v_dual_and_b32 v14, 0xffff, v14
	v_cmp_eq_u32_e32 vcc_lo, 3, v77
	v_and_b32_e32 v19, 0xffff, v19
	v_and_or_b32 v30, 0x8000, v33, v32
	v_and_or_b32 v33, 0x8000, v52, v51
	v_lshl_or_b32 v14, v26, 16, v14
	s_or_b32 vcc_lo, vcc_lo, s9
	v_lshl_or_b32 v26, v38, 9, 0x7c00
	v_lshl_or_b32 v19, v30, 16, v19
	v_and_b32_e32 v27, 0xffff, v33
	v_and_or_b32 v20, 0x8000, v37, v31
	v_and_or_b32 v32, 0x8000, v48, v47
	s_delay_alu instid0(VALU_DEP_3)
	v_lshl_or_b32 v27, v28, 16, v27
	s_clause 0x3
	global_store_b32 v[3:4], v27, off
	global_store_b32 v[44:45], v13, off
	;; [unrolled: 1-line block ×4, first 2 shown]
	v_lshrrev_b32_e32 v19, 8, v10
	v_lshrrev_b32_e32 v22, 2, v46
	v_bfe_u32 v21, v10, 20, 11
	v_cvt_f64_f32_e32 v[13:14], v15
	v_lshrrev_b32_e32 v28, 16, v39
	v_and_or_b32 v9, 0xffe, v19, v9
	s_wait_alu 0xfffe
	v_add_co_ci_u32_e32 v19, vcc_lo, 0, v22, vcc_lo
	v_sub_nc_u32_e32 v15, 0x3f1, v21
	v_cmp_ne_u32_e32 vcc_lo, 0, v17
	v_or_b32_e32 v22, 0x1000, v9
	v_add_nc_u32_e32 v21, 0xfffffc10, v21
	v_and_b32_e32 v20, 0xffff, v20
	v_med3_i32 v15, v15, 0, 13
	s_wait_alu 0xfffd
	v_cndmask_b32_e64 v17, 0, 1, vcc_lo
	v_cmp_gt_i32_e32 vcc_lo, 31, v59
	v_cmp_eq_u32_e64 s1, 0x40f, v21
	v_lshl_or_b32 v20, v32, 16, v20
	v_lshrrev_b32_e32 v27, v15, v22
	v_lshl_or_b32 v17, v17, 9, 0x7c00
	s_wait_alu 0xfffd
	v_cndmask_b32_e32 v19, 0x7c00, v19, vcc_lo
	v_cmp_eq_u32_e32 vcc_lo, 0x40f, v76
	global_store_b32 v[11:12], v20, off
	v_lshlrev_b32_e32 v15, v15, v27
	v_lshrrev_b32_e32 v10, 16, v10
	s_wait_alu 0xfffd
	v_cndmask_b32_e32 v26, v53, v26, vcc_lo
	v_cmp_eq_u32_e32 vcc_lo, 0x40f, v59
	s_wait_alu 0xfffd
	v_cndmask_b32_e32 v17, v19, v17, vcc_lo
	v_cmp_ne_u32_e32 vcc_lo, v15, v22
	v_and_or_b32 v19, 0x8000, v28, v26
	s_delay_alu instid0(VALU_DEP_3) | instskip(SKIP_2) | instid1(VALU_DEP_3)
	v_and_or_b32 v22, 0x8000, v18, v17
	s_wait_alu 0xfffd
	v_cndmask_b32_e64 v15, 0, 1, vcc_lo
	v_and_b32_e32 v19, 0xffff, v19
	v_cmp_ne_u32_e32 vcc_lo, 0, v5
	v_cvt_f32_f16_e32 v17, v7
	v_lshl_or_b32 v18, v21, 12, v9
	v_or_b32_e32 v15, v27, v15
	v_mul_f64_e32 v[7:8], s[14:15], v[13:14]
	s_wait_alu 0xfffd
	v_cndmask_b32_e64 v5, 0, 1, vcc_lo
	v_cmp_gt_i32_e32 vcc_lo, 1, v21
	v_cvt_f64_f32_e32 v[13:14], v17
	v_lshl_or_b32 v22, v22, 16, v19
	s_delay_alu instid0(VALU_DEP_4)
	v_and_or_b32 v26, 0xffe, v16, v5
	v_sub_nc_u32_e32 v5, 0x3f1, v25
	s_wait_alu 0xfffd
	v_cndmask_b32_e32 v27, v18, v15, vcc_lo
	v_mad_co_u64_u32 v[15:16], null, s12, 20, v[3:4]
	v_or_b32_e32 v28, 0x1000, v26
	v_med3_i32 v29, v5, 0, 13
	ds_load_b64 v[17:18], v24 offset:32
	v_and_b32_e32 v24, 7, v27
	v_lshrrev_b32_e32 v19, v29, v28
	v_mov_b32_e32 v5, v16
	s_delay_alu instid0(VALU_DEP_3) | instskip(SKIP_4) | instid1(VALU_DEP_4)
	v_cmp_lt_i32_e32 vcc_lo, 5, v24
	v_cmp_eq_u32_e64 s0, 3, v24
	v_lshrrev_b32_e32 v16, 2, v27
	v_lshlrev_b32_e32 v20, v29, v19
	v_mad_co_u64_u32 v[11:12], null, s13, 20, v[5:6]
	s_or_b32 vcc_lo, s0, vcc_lo
	s_wait_alu 0xfffe
	v_add_co_ci_u32_e32 v5, vcc_lo, 0, v16, vcc_lo
	v_cmp_ne_u32_e32 vcc_lo, v20, v28
	v_add_nc_u32_e32 v16, 0xfffffc10, v25
	s_wait_dscnt 0x0
	v_lshrrev_b32_e32 v24, 16, v17
	s_wait_alu 0xfffd
	v_cndmask_b32_e64 v12, 0, 1, vcc_lo
	v_cmp_gt_i32_e32 vcc_lo, 31, v21
	s_delay_alu instid0(VALU_DEP_3) | instskip(NEXT) | instid1(VALU_DEP_3)
	v_mul_f16_e32 v20, v23, v24
	v_or_b32_e32 v12, v19, v12
	s_wait_alu 0xfffd
	v_cndmask_b32_e32 v5, 0x7c00, v5, vcc_lo
	v_cmp_ne_u32_e32 vcc_lo, 0, v9
	v_lshl_or_b32 v19, v16, 12, v26
	v_and_or_b32 v7, 0x1ff, v8, v7
	v_fmac_f16_e32 v20, v1, v17
	v_bfe_u32 v27, v8, 20, 11
	s_wait_alu 0xfffd
	v_cndmask_b32_e64 v9, 0, 1, vcc_lo
	v_cmp_gt_i32_e32 vcc_lo, 1, v16
	v_cvt_f32_f16_e32 v20, v20
	s_delay_alu instid0(VALU_DEP_3)
	v_lshl_or_b32 v9, v9, 9, 0x7c00
	s_wait_alu 0xfffd
	v_cndmask_b32_e32 v25, v19, v12, vcc_lo
	v_mul_f64_e32 v[12:13], s[14:15], v[13:14]
	v_cmp_ne_u32_e32 vcc_lo, 0, v7
	v_lshrrev_b32_e32 v19, 8, v8
	v_cndmask_b32_e64 v5, v5, v9, s1
	v_and_b32_e32 v14, 7, v25
	v_lshrrev_b32_e32 v9, 2, v25
	s_wait_alu 0xfffd
	v_cndmask_b32_e64 v7, 0, 1, vcc_lo
	v_lshrrev_b32_e32 v8, 16, v8
	v_and_or_b32 v28, 0x8000, v10, v5
	v_cmp_lt_i32_e32 vcc_lo, 5, v14
	v_cmp_eq_u32_e64 s0, 3, v14
	v_and_or_b32 v14, 0xffe, v19, v7
	v_cvt_f64_f32_e32 v[19:20], v20
	v_sub_nc_u32_e32 v7, 0x3f1, v27
	v_mul_f16_e32 v5, v23, v17
	s_or_b32 vcc_lo, s0, vcc_lo
	v_or_b32_e32 v21, 0x1000, v14
	s_wait_alu 0xfffe
	v_add_co_ci_u32_e32 v9, vcc_lo, 0, v9, vcc_lo
	v_med3_i32 v7, v7, 0, 13
	v_cmp_ne_u32_e32 vcc_lo, 0, v26
	v_fma_f16 v1, v1, v24, -v5
	v_lshrrev_b32_e32 v17, 16, v6
	v_mad_co_u64_u32 v[5:6], null, s12, 24, v[3:4]
	s_wait_alu 0xfffd
	v_cndmask_b32_e64 v25, 0, 1, vcc_lo
	v_lshrrev_b32_e32 v26, v7, v21
	v_cmp_gt_i32_e32 vcc_lo, 31, v16
	v_cvt_f32_f16_e32 v1, v1
	s_delay_alu instid0(VALU_DEP_4) | instskip(SKIP_4) | instid1(VALU_DEP_2)
	v_lshl_or_b32 v25, v25, 9, 0x7c00
	s_wait_alu 0xfffd
	v_cndmask_b32_e32 v9, 0x7c00, v9, vcc_lo
	v_cmp_eq_u32_e32 vcc_lo, 0x40f, v16
	s_wait_alu 0xfffd
	v_dual_cndmask_b32 v16, v9, v25 :: v_dual_lshlrev_b32 v7, v7, v26
	s_delay_alu instid0(VALU_DEP_1)
	v_cmp_ne_u32_e32 vcc_lo, v7, v21
	v_and_or_b32 v12, 0x1ff, v13, v12
	v_add_nc_u32_e32 v21, 0xfffffc10, v27
	v_cvt_f64_f32_e32 v[9:10], v1
	v_bfe_u32 v24, v13, 20, 11
	s_wait_alu 0xfffd
	v_cndmask_b32_e64 v7, 0, 1, vcc_lo
	v_cmp_ne_u32_e32 vcc_lo, 0, v12
	v_lshrrev_b32_e32 v12, 8, v13
	v_lshl_or_b32 v23, v21, 12, v14
	v_lshrrev_b32_e32 v13, 16, v13
	v_or_b32_e32 v7, v26, v7
	s_wait_alu 0xfffd
	v_cndmask_b32_e64 v1, 0, 1, vcc_lo
	v_mul_f64_e32 v[19:20], s[14:15], v[19:20]
	v_cmp_gt_i32_e32 vcc_lo, 1, v21
	s_delay_alu instid0(VALU_DEP_3)
	v_and_or_b32 v25, 0xffe, v12, v1
	v_sub_nc_u32_e32 v1, 0x3f1, v24
	s_wait_alu 0xfffd
	v_cndmask_b32_e32 v23, v23, v7, vcc_lo
	v_and_or_b32 v7, 0x8000, v17, v16
	v_and_b32_e32 v12, 0xffff, v28
	v_or_b32_e32 v26, 0x1000, v25
	v_med3_i32 v27, v1, 0, 13
	v_and_b32_e32 v17, 7, v23
	v_dual_mov_b32 v1, v6 :: v_dual_mov_b32 v16, v11
	v_lshl_or_b32 v28, v7, 16, v12
	s_delay_alu instid0(VALU_DEP_4) | instskip(NEXT) | instid1(VALU_DEP_4)
	v_lshrrev_b32_e32 v11, v27, v26
	v_cmp_lt_i32_e32 vcc_lo, 5, v17
	v_cmp_eq_u32_e64 s0, 3, v17
	v_mad_co_u64_u32 v[6:7], null, s13, 24, v[1:2]
	v_lshrrev_b32_e32 v1, 2, v23
	v_lshlrev_b32_e32 v7, v27, v11
	s_delay_alu instid0(VALU_DEP_4)
	s_or_b32 vcc_lo, s0, vcc_lo
	v_lshrrev_b32_e32 v17, 16, v18
	v_add_nc_u32_e32 v23, 0xfffffc10, v24
	s_wait_alu 0xfffe
	v_add_co_ci_u32_e32 v1, vcc_lo, 0, v1, vcc_lo
	v_cmp_ne_u32_e32 vcc_lo, v7, v26
	v_mul_f16_e32 v12, v0, v17
	v_mul_f64_e32 v[9:10], s[14:15], v[9:10]
	v_mul_f16_e32 v0, v0, v18
	s_wait_alu 0xfffd
	v_cndmask_b32_e64 v7, 0, 1, vcc_lo
	v_cmp_gt_i32_e32 vcc_lo, 31, v21
	v_fmac_f16_e32 v12, v2, v18
	v_fma_f16 v0, v2, v17, -v0
	s_delay_alu instid0(VALU_DEP_4)
	v_or_b32_e32 v7, v11, v7
	s_wait_alu 0xfffd
	v_cndmask_b32_e32 v1, 0x7c00, v1, vcc_lo
	v_cmp_ne_u32_e32 vcc_lo, 0, v14
	v_lshl_or_b32 v11, v23, 12, v25
	v_and_or_b32 v19, 0x1ff, v20, v19
	v_cvt_f32_f16_e32 v12, v12
	v_lshrrev_b32_e32 v24, 8, v20
	s_wait_alu 0xfffd
	v_cndmask_b32_e64 v14, 0, 1, vcc_lo
	v_cmp_gt_i32_e32 vcc_lo, 1, v23
	v_bfe_u32 v2, v20, 20, 11
	v_cvt_f32_f16_e32 v0, v0
	v_lshrrev_b32_e32 v20, 16, v20
	v_lshl_or_b32 v14, v14, 9, 0x7c00
	s_wait_alu 0xfffd
	v_cndmask_b32_e32 v7, v11, v7, vcc_lo
	v_cmp_ne_u32_e32 vcc_lo, 0, v19
	v_cvt_f64_f32_e32 v[11:12], v12
	s_delay_alu instid0(VALU_DEP_3)
	v_and_b32_e32 v18, 7, v7
	s_wait_alu 0xfffd
	v_cndmask_b32_e64 v19, 0, 1, vcc_lo
	v_cmp_eq_u32_e32 vcc_lo, 0x40f, v21
	v_lshrrev_b32_e32 v7, 2, v7
	v_cmp_eq_u32_e64 s0, 3, v18
	s_delay_alu instid0(VALU_DEP_4)
	v_and_or_b32 v17, 0xffe, v24, v19
	s_wait_alu 0xfffd
	v_cndmask_b32_e32 v14, v1, v14, vcc_lo
	v_cmp_lt_i32_e32 vcc_lo, 5, v18
	v_sub_nc_u32_e32 v19, 0x3f1, v2
	v_cvt_f64_f32_e32 v[0:1], v0
	v_or_b32_e32 v18, 0x1000, v17
	v_and_or_b32 v14, 0x8000, v8, v14
	s_or_b32 vcc_lo, s0, vcc_lo
	v_med3_i32 v19, v19, 0, 13
	s_wait_alu 0xfffe
	v_add_co_ci_u32_e32 v7, vcc_lo, 0, v7, vcc_lo
	v_cmp_ne_u32_e32 vcc_lo, 0, v25
	v_and_or_b32 v9, 0x1ff, v10, v9
	v_lshrrev_b32_e32 v24, v19, v18
	v_and_b32_e32 v14, 0xffff, v14
	s_wait_alu 0xfffd
	v_cndmask_b32_e64 v21, 0, 1, vcc_lo
	v_cmp_gt_i32_e32 vcc_lo, 31, v23
	v_lshlrev_b32_e32 v8, v19, v24
	s_delay_alu instid0(VALU_DEP_3)
	v_lshl_or_b32 v21, v21, 9, 0x7c00
	s_wait_alu 0xfffd
	v_cndmask_b32_e32 v7, 0x7c00, v7, vcc_lo
	v_cmp_eq_u32_e32 vcc_lo, 0x40f, v23
	v_add_nc_u32_e32 v23, 0xfffffc10, v2
	s_wait_alu 0xfffd
	s_delay_alu instid0(VALU_DEP_3)
	v_cndmask_b32_e32 v19, v7, v21, vcc_lo
	v_cmp_ne_u32_e32 vcc_lo, v8, v18
	v_mul_f64_e32 v[7:8], s[14:15], v[11:12]
	v_lshrrev_b32_e32 v11, 8, v10
	v_bfe_u32 v21, v10, 20, 11
	v_and_or_b32 v13, 0x8000, v13, v19
	s_wait_alu 0xfffd
	v_cndmask_b32_e64 v18, 0, 1, vcc_lo
	v_cmp_ne_u32_e32 vcc_lo, 0, v9
	v_lshl_or_b32 v19, v23, 12, v17
	v_lshrrev_b32_e32 v10, 16, v10
	v_lshl_or_b32 v14, v13, 16, v14
	v_or_b32_e32 v2, v24, v18
	s_wait_alu 0xfffd
	v_cndmask_b32_e64 v9, 0, 1, vcc_lo
	v_cmp_gt_i32_e32 vcc_lo, 1, v23
	v_sub_nc_u32_e32 v18, 0x3f1, v21
	v_mul_f64_e32 v[0:1], s[14:15], v[0:1]
	s_delay_alu instid0(VALU_DEP_4)
	v_and_or_b32 v9, 0xffe, v11, v9
	v_mad_co_u64_u32 v[11:12], null, s12, 28, v[3:4]
	s_wait_alu 0xfffd
	v_cndmask_b32_e32 v19, v19, v2, vcc_lo
	v_med3_i32 v18, v18, 0, 13
	v_or_b32_e32 v24, 0x1000, v9
	s_delay_alu instid0(VALU_DEP_3) | instskip(SKIP_1) | instid1(VALU_DEP_3)
	v_and_b32_e32 v26, 7, v19
	v_mov_b32_e32 v2, v12
	v_lshrrev_b32_e32 v25, v18, v24
	s_delay_alu instid0(VALU_DEP_3) | instskip(SKIP_1) | instid1(VALU_DEP_4)
	v_cmp_lt_i32_e32 vcc_lo, 5, v26
	v_cmp_eq_u32_e64 s0, 3, v26
	v_mad_co_u64_u32 v[12:13], null, s13, 28, v[2:3]
	v_lshrrev_b32_e32 v2, 2, v19
	v_lshlrev_b32_e32 v18, v18, v25
	s_delay_alu instid0(VALU_DEP_4) | instskip(SKIP_1) | instid1(VALU_DEP_2)
	s_or_b32 vcc_lo, s0, vcc_lo
	s_wait_alu 0xfffe
	v_add_co_ci_u32_e32 v2, vcc_lo, 0, v2, vcc_lo
	s_delay_alu instid0(VALU_DEP_2)
	v_cmp_ne_u32_e64 s1, v18, v24
	v_cmp_ne_u32_e32 vcc_lo, 0, v17
	v_add_nc_u32_e32 v18, 0xfffffc10, v21
	v_and_or_b32 v7, 0x1ff, v8, v7
	v_bfe_u32 v21, v8, 20, 11
	s_wait_alu 0xf1ff
	v_cndmask_b32_e64 v13, 0, 1, s1
	s_wait_alu 0xfffd
	v_cndmask_b32_e64 v17, 0, 1, vcc_lo
	v_cmp_gt_i32_e32 vcc_lo, 31, v23
	v_lshl_or_b32 v19, v18, 12, v9
	v_or_b32_e32 v13, v25, v13
	s_delay_alu instid0(VALU_DEP_4)
	v_lshl_or_b32 v17, v17, 9, 0x7c00
	s_wait_alu 0xfffd
	v_cndmask_b32_e32 v2, 0x7c00, v2, vcc_lo
	v_cmp_gt_i32_e32 vcc_lo, 1, v18
	v_and_or_b32 v0, 0x1ff, v1, v0
	v_lshrrev_b32_e32 v24, 8, v1
	v_bfe_u32 v25, v1, 20, 11
	s_wait_alu 0xfffd
	v_cndmask_b32_e32 v13, v19, v13, vcc_lo
	v_cmp_ne_u32_e32 vcc_lo, 0, v7
	v_lshrrev_b32_e32 v19, 8, v8
	v_cmp_ne_u32_e64 s0, 0, v0
	v_lshrrev_b32_e32 v8, 16, v8
	s_wait_alu 0xfffd
	v_cndmask_b32_e64 v7, 0, 1, vcc_lo
	v_cmp_eq_u32_e32 vcc_lo, 0x40f, v23
	s_wait_alu 0xf1ff
	v_cndmask_b32_e64 v0, 0, 1, s0
	s_delay_alu instid0(VALU_DEP_3)
	v_and_or_b32 v7, 0xffe, v19, v7
	v_sub_nc_u32_e32 v19, 0x3f1, v21
	s_wait_alu 0xfffd
	v_cndmask_b32_e32 v2, v2, v17, vcc_lo
	v_and_b32_e32 v17, 7, v13
	v_lshrrev_b32_e32 v13, 2, v13
	v_or_b32_e32 v23, 0x1000, v7
	v_med3_i32 v19, v19, 0, 13
	v_and_or_b32 v0, 0xffe, v24, v0
	v_cmp_lt_i32_e32 vcc_lo, 5, v17
	v_cmp_eq_u32_e64 s0, 3, v17
	v_sub_nc_u32_e32 v24, 0x3f1, v25
	v_lshrrev_b32_e32 v17, v19, v23
	v_or_b32_e32 v26, 0x1000, v0
	v_add_nc_u32_e32 v21, 0xfffffc10, v21
	s_or_b32 vcc_lo, s0, vcc_lo
	v_med3_i32 v24, v24, 0, 13
	s_wait_alu 0xfffe
	v_add_co_ci_u32_e32 v13, vcc_lo, 0, v13, vcc_lo
	v_lshlrev_b32_e32 v19, v19, v17
	v_cmp_ne_u32_e32 vcc_lo, 0, v9
	v_and_or_b32 v2, 0x8000, v20, v2
	v_cmp_gt_i32_e64 s1, 31, v21
	s_wait_alu 0xfffd
	v_cndmask_b32_e64 v9, 0, 1, vcc_lo
	v_cmp_ne_u32_e32 vcc_lo, v19, v23
	v_lshrrev_b32_e32 v23, v24, v26
	v_and_b32_e32 v2, 0xffff, v2
	s_delay_alu instid0(VALU_DEP_4) | instskip(SKIP_4) | instid1(VALU_DEP_3)
	v_lshl_or_b32 v9, v9, 9, 0x7c00
	s_wait_alu 0xfffd
	v_cndmask_b32_e64 v19, 0, 1, vcc_lo
	v_cmp_gt_i32_e32 vcc_lo, 31, v18
	v_lshlrev_b32_e32 v24, v24, v23
	v_or_b32_e32 v17, v17, v19
	s_wait_alu 0xfffd
	v_cndmask_b32_e32 v13, 0x7c00, v13, vcc_lo
	v_cmp_eq_u32_e32 vcc_lo, 0x40f, v18
	v_lshl_or_b32 v19, v21, 12, v7
	v_add_nc_u32_e32 v18, 0xfffffc10, v25
	s_wait_alu 0xfffd
	v_cndmask_b32_e32 v9, v13, v9, vcc_lo
	v_cmp_gt_i32_e32 vcc_lo, 1, v21
	s_delay_alu instid0(VALU_DEP_3) | instskip(SKIP_1) | instid1(VALU_DEP_4)
	v_lshl_or_b32 v20, v18, 12, v0
	v_cmp_gt_i32_e64 s0, 1, v18
	v_and_or_b32 v9, 0x8000, v10, v9
	s_wait_alu 0xfffd
	v_cndmask_b32_e32 v13, v19, v17, vcc_lo
	v_cmp_ne_u32_e32 vcc_lo, v24, v26
	s_delay_alu instid0(VALU_DEP_2) | instskip(SKIP_3) | instid1(VALU_DEP_3)
	v_and_b32_e32 v19, 7, v13
	s_wait_alu 0xfffd
	v_cndmask_b32_e64 v17, 0, 1, vcc_lo
	v_lshrrev_b32_e32 v13, 2, v13
	v_cmp_lt_i32_e32 vcc_lo, 5, v19
	s_delay_alu instid0(VALU_DEP_3) | instskip(SKIP_1) | instid1(VALU_DEP_1)
	v_or_b32_e32 v17, v23, v17
	s_wait_alu 0xf1ff
	v_cndmask_b32_e64 v10, v20, v17, s0
	v_cmp_eq_u32_e64 s0, 3, v19
	v_lshl_or_b32 v17, v9, 16, v2
	s_delay_alu instid0(VALU_DEP_3) | instskip(NEXT) | instid1(VALU_DEP_3)
	v_and_b32_e32 v2, 7, v10
	s_or_b32 vcc_lo, s0, vcc_lo
	s_wait_alu 0xfffe
	v_add_co_ci_u32_e32 v9, vcc_lo, 0, v13, vcc_lo
	v_cmp_ne_u32_e32 vcc_lo, 0, v7
	v_cmp_eq_u32_e64 s0, 3, v2
	s_delay_alu instid0(VALU_DEP_3)
	v_cndmask_b32_e64 v13, 0x7c00, v9, s1
	s_wait_alu 0xfffd
	v_cndmask_b32_e64 v7, 0, 1, vcc_lo
	v_cmp_lt_i32_e32 vcc_lo, 5, v2
	v_lshrrev_b32_e32 v2, 2, v10
	v_mad_co_u64_u32 v[9:10], null, s12, 36, v[3:4]
	s_delay_alu instid0(VALU_DEP_4)
	v_lshl_or_b32 v7, v7, 9, 0x7c00
	s_or_b32 vcc_lo, s0, vcc_lo
	s_lshl_b64 s[0:1], s[12:13], 5
	s_wait_alu 0xfffe
	v_add_co_ci_u32_e32 v2, vcc_lo, 0, v2, vcc_lo
	v_cmp_ne_u32_e32 vcc_lo, 0, v0
	s_wait_alu 0xfffd
	v_cndmask_b32_e64 v0, 0, 1, vcc_lo
	v_cmp_gt_i32_e32 vcc_lo, 31, v18
	s_delay_alu instid0(VALU_DEP_2)
	v_lshl_or_b32 v0, v0, 9, 0x7c00
	s_wait_alu 0xfffd
	v_cndmask_b32_e32 v2, 0x7c00, v2, vcc_lo
	v_cmp_eq_u32_e32 vcc_lo, 0x40f, v21
	s_wait_alu 0xfffd
	v_cndmask_b32_e32 v7, v13, v7, vcc_lo
	v_cmp_eq_u32_e32 vcc_lo, 0x40f, v18
	s_delay_alu instid0(VALU_DEP_2)
	v_and_or_b32 v7, 0x8000, v8, v7
	s_wait_alu 0xfffd
	v_cndmask_b32_e32 v2, v2, v0, vcc_lo
	v_mov_b32_e32 v0, v10
	v_lshrrev_b32_e32 v10, 16, v1
	v_and_b32_e32 v7, 0xffff, v7
	s_delay_alu instid0(VALU_DEP_3) | instskip(NEXT) | instid1(VALU_DEP_3)
	v_mad_co_u64_u32 v[0:1], null, s13, 36, v[0:1]
	v_and_or_b32 v8, 0x8000, v10, v2
	v_add_co_u32 v1, vcc_lo, v3, s0
	s_wait_alu 0xfffd
	v_add_co_ci_u32_e32 v2, vcc_lo, s1, v4, vcc_lo
	s_delay_alu instid0(VALU_DEP_3)
	v_lshl_or_b32 v3, v8, 16, v7
	v_mov_b32_e32 v10, v0
	s_clause 0x4
	global_store_b32 v[15:16], v22, off
	global_store_b32 v[5:6], v28, off
	;; [unrolled: 1-line block ×5, first 2 shown]
.LBB0_2:
	s_nop 0
	s_sendmsg sendmsg(MSG_DEALLOC_VGPRS)
	s_endpgm
	.section	.rodata,"a",@progbits
	.p2align	6, 0x0
	.amdhsa_kernel bluestein_single_back_len10_dim1_half_op_CI_CI
		.amdhsa_group_segment_fixed_size 2560
		.amdhsa_private_segment_fixed_size 0
		.amdhsa_kernarg_size 104
		.amdhsa_user_sgpr_count 2
		.amdhsa_user_sgpr_dispatch_ptr 0
		.amdhsa_user_sgpr_queue_ptr 0
		.amdhsa_user_sgpr_kernarg_segment_ptr 1
		.amdhsa_user_sgpr_dispatch_id 0
		.amdhsa_user_sgpr_private_segment_size 0
		.amdhsa_wavefront_size32 1
		.amdhsa_uses_dynamic_stack 0
		.amdhsa_enable_private_segment 0
		.amdhsa_system_sgpr_workgroup_id_x 1
		.amdhsa_system_sgpr_workgroup_id_y 0
		.amdhsa_system_sgpr_workgroup_id_z 0
		.amdhsa_system_sgpr_workgroup_info 0
		.amdhsa_system_vgpr_workitem_id 0
		.amdhsa_next_free_vgpr 81
		.amdhsa_next_free_sgpr 16
		.amdhsa_reserve_vcc 1
		.amdhsa_float_round_mode_32 0
		.amdhsa_float_round_mode_16_64 0
		.amdhsa_float_denorm_mode_32 3
		.amdhsa_float_denorm_mode_16_64 3
		.amdhsa_fp16_overflow 0
		.amdhsa_workgroup_processor_mode 1
		.amdhsa_memory_ordered 1
		.amdhsa_forward_progress 0
		.amdhsa_round_robin_scheduling 0
		.amdhsa_exception_fp_ieee_invalid_op 0
		.amdhsa_exception_fp_denorm_src 0
		.amdhsa_exception_fp_ieee_div_zero 0
		.amdhsa_exception_fp_ieee_overflow 0
		.amdhsa_exception_fp_ieee_underflow 0
		.amdhsa_exception_fp_ieee_inexact 0
		.amdhsa_exception_int_div_zero 0
	.end_amdhsa_kernel
	.text
.Lfunc_end0:
	.size	bluestein_single_back_len10_dim1_half_op_CI_CI, .Lfunc_end0-bluestein_single_back_len10_dim1_half_op_CI_CI
                                        ; -- End function
	.section	.AMDGPU.csdata,"",@progbits
; Kernel info:
; codeLenInByte = 10076
; NumSgprs: 18
; NumVgprs: 81
; ScratchSize: 0
; MemoryBound: 0
; FloatMode: 240
; IeeeMode: 1
; LDSByteSize: 2560 bytes/workgroup (compile time only)
; SGPRBlocks: 2
; VGPRBlocks: 10
; NumSGPRsForWavesPerEU: 18
; NumVGPRsForWavesPerEU: 81
; Occupancy: 16
; WaveLimiterHint : 1
; COMPUTE_PGM_RSRC2:SCRATCH_EN: 0
; COMPUTE_PGM_RSRC2:USER_SGPR: 2
; COMPUTE_PGM_RSRC2:TRAP_HANDLER: 0
; COMPUTE_PGM_RSRC2:TGID_X_EN: 1
; COMPUTE_PGM_RSRC2:TGID_Y_EN: 0
; COMPUTE_PGM_RSRC2:TGID_Z_EN: 0
; COMPUTE_PGM_RSRC2:TIDIG_COMP_CNT: 0
	.text
	.p2alignl 7, 3214868480
	.fill 96, 4, 3214868480
	.type	__hip_cuid_4a3c4a79e6e6dac9,@object ; @__hip_cuid_4a3c4a79e6e6dac9
	.section	.bss,"aw",@nobits
	.globl	__hip_cuid_4a3c4a79e6e6dac9
__hip_cuid_4a3c4a79e6e6dac9:
	.byte	0                               ; 0x0
	.size	__hip_cuid_4a3c4a79e6e6dac9, 1

	.ident	"AMD clang version 19.0.0git (https://github.com/RadeonOpenCompute/llvm-project roc-6.4.0 25133 c7fe45cf4b819c5991fe208aaa96edf142730f1d)"
	.section	".note.GNU-stack","",@progbits
	.addrsig
	.addrsig_sym __hip_cuid_4a3c4a79e6e6dac9
	.amdgpu_metadata
---
amdhsa.kernels:
  - .args:
      - .actual_access:  read_only
        .address_space:  global
        .offset:         0
        .size:           8
        .value_kind:     global_buffer
      - .actual_access:  read_only
        .address_space:  global
        .offset:         8
        .size:           8
        .value_kind:     global_buffer
      - .actual_access:  read_only
        .address_space:  global
        .offset:         16
        .size:           8
        .value_kind:     global_buffer
      - .actual_access:  read_only
        .address_space:  global
        .offset:         24
        .size:           8
        .value_kind:     global_buffer
      - .actual_access:  read_only
        .address_space:  global
        .offset:         32
        .size:           8
        .value_kind:     global_buffer
      - .offset:         40
        .size:           8
        .value_kind:     by_value
      - .address_space:  global
        .offset:         48
        .size:           8
        .value_kind:     global_buffer
      - .address_space:  global
        .offset:         56
        .size:           8
        .value_kind:     global_buffer
      - .address_space:  global
        .offset:         64
        .size:           8
        .value_kind:     global_buffer
      - .address_space:  global
        .offset:         72
        .size:           8
        .value_kind:     global_buffer
      - .offset:         80
        .size:           4
        .value_kind:     by_value
      - .address_space:  global
        .offset:         88
        .size:           8
        .value_kind:     global_buffer
      - .address_space:  global
        .offset:         96
        .size:           8
        .value_kind:     global_buffer
    .group_segment_fixed_size: 2560
    .kernarg_segment_align: 8
    .kernarg_segment_size: 104
    .language:       OpenCL C
    .language_version:
      - 2
      - 0
    .max_flat_workgroup_size: 64
    .name:           bluestein_single_back_len10_dim1_half_op_CI_CI
    .private_segment_fixed_size: 0
    .sgpr_count:     18
    .sgpr_spill_count: 0
    .symbol:         bluestein_single_back_len10_dim1_half_op_CI_CI.kd
    .uniform_work_group_size: 1
    .uses_dynamic_stack: false
    .vgpr_count:     81
    .vgpr_spill_count: 0
    .wavefront_size: 32
    .workgroup_processor_mode: 1
amdhsa.target:   amdgcn-amd-amdhsa--gfx1201
amdhsa.version:
  - 1
  - 2
...

	.end_amdgpu_metadata
